;; amdgpu-corpus repo=ROCm/rocFFT kind=compiled arch=gfx906 opt=O3
	.text
	.amdgcn_target "amdgcn-amd-amdhsa--gfx906"
	.amdhsa_code_object_version 6
	.protected	fft_rtc_fwd_len352_factors_11_2_16_wgs_64_tpt_32_sp_op_CI_CI_sbrr_dirReg ; -- Begin function fft_rtc_fwd_len352_factors_11_2_16_wgs_64_tpt_32_sp_op_CI_CI_sbrr_dirReg
	.globl	fft_rtc_fwd_len352_factors_11_2_16_wgs_64_tpt_32_sp_op_CI_CI_sbrr_dirReg
	.p2align	8
	.type	fft_rtc_fwd_len352_factors_11_2_16_wgs_64_tpt_32_sp_op_CI_CI_sbrr_dirReg,@function
fft_rtc_fwd_len352_factors_11_2_16_wgs_64_tpt_32_sp_op_CI_CI_sbrr_dirReg: ; @fft_rtc_fwd_len352_factors_11_2_16_wgs_64_tpt_32_sp_op_CI_CI_sbrr_dirReg
; %bb.0:
	s_load_dwordx4 s[16:19], s[4:5], 0x18
	s_load_dwordx4 s[12:15], s[4:5], 0x0
	;; [unrolled: 1-line block ×3, first 2 shown]
	v_lshrrev_b32_e32 v1, 5, v0
	v_lshl_or_b32 v5, s6, 1, v1
	s_waitcnt lgkmcnt(0)
	s_load_dwordx2 s[22:23], s[16:17], 0x0
	s_load_dwordx2 s[20:21], s[18:19], 0x0
	v_cmp_lt_u64_e64 s[0:1], s[14:15], 2
	v_mov_b32_e32 v3, 0
	v_mov_b32_e32 v1, 0
	;; [unrolled: 1-line block ×3, first 2 shown]
	s_and_b64 vcc, exec, s[0:1]
	v_mov_b32_e32 v2, 0
	s_cbranch_vccnz .LBB0_8
; %bb.1:
	s_load_dwordx2 s[0:1], s[4:5], 0x10
	s_add_u32 s2, s18, 8
	s_addc_u32 s3, s19, 0
	s_add_u32 s6, s16, 8
	v_mov_b32_e32 v1, 0
	s_addc_u32 s7, s17, 0
	v_mov_b32_e32 v2, 0
	s_waitcnt lgkmcnt(0)
	s_add_u32 s24, s0, 8
	v_mov_b32_e32 v29, v2
	s_addc_u32 s25, s1, 0
	s_mov_b64 s[26:27], 1
	v_mov_b32_e32 v28, v1
.LBB0_2:                                ; =>This Inner Loop Header: Depth=1
	s_load_dwordx2 s[28:29], s[24:25], 0x0
                                        ; implicit-def: $vgpr30_vgpr31
	s_waitcnt lgkmcnt(0)
	v_or_b32_e32 v4, s29, v6
	v_cmp_ne_u64_e32 vcc, 0, v[3:4]
	s_and_saveexec_b64 s[0:1], vcc
	s_xor_b64 s[30:31], exec, s[0:1]
	s_cbranch_execz .LBB0_4
; %bb.3:                                ;   in Loop: Header=BB0_2 Depth=1
	v_cvt_f32_u32_e32 v4, s28
	v_cvt_f32_u32_e32 v7, s29
	s_sub_u32 s0, 0, s28
	s_subb_u32 s1, 0, s29
	v_mac_f32_e32 v4, 0x4f800000, v7
	v_rcp_f32_e32 v4, v4
	v_mul_f32_e32 v4, 0x5f7ffffc, v4
	v_mul_f32_e32 v7, 0x2f800000, v4
	v_trunc_f32_e32 v7, v7
	v_mac_f32_e32 v4, 0xcf800000, v7
	v_cvt_u32_f32_e32 v7, v7
	v_cvt_u32_f32_e32 v4, v4
	v_mul_lo_u32 v8, s0, v7
	v_mul_hi_u32 v9, s0, v4
	v_mul_lo_u32 v11, s1, v4
	v_mul_lo_u32 v10, s0, v4
	v_add_u32_e32 v8, v9, v8
	v_add_u32_e32 v8, v8, v11
	v_mul_hi_u32 v9, v4, v10
	v_mul_lo_u32 v11, v4, v8
	v_mul_hi_u32 v13, v4, v8
	v_mul_hi_u32 v12, v7, v10
	v_mul_lo_u32 v10, v7, v10
	v_mul_hi_u32 v14, v7, v8
	v_add_co_u32_e32 v9, vcc, v9, v11
	v_addc_co_u32_e32 v11, vcc, 0, v13, vcc
	v_mul_lo_u32 v8, v7, v8
	v_add_co_u32_e32 v9, vcc, v9, v10
	v_addc_co_u32_e32 v9, vcc, v11, v12, vcc
	v_addc_co_u32_e32 v10, vcc, 0, v14, vcc
	v_add_co_u32_e32 v8, vcc, v9, v8
	v_addc_co_u32_e32 v9, vcc, 0, v10, vcc
	v_add_co_u32_e32 v4, vcc, v4, v8
	v_addc_co_u32_e32 v7, vcc, v7, v9, vcc
	v_mul_lo_u32 v8, s0, v7
	v_mul_hi_u32 v9, s0, v4
	v_mul_lo_u32 v10, s1, v4
	v_mul_lo_u32 v11, s0, v4
	v_add_u32_e32 v8, v9, v8
	v_add_u32_e32 v8, v8, v10
	v_mul_lo_u32 v12, v4, v8
	v_mul_hi_u32 v13, v4, v11
	v_mul_hi_u32 v14, v4, v8
	;; [unrolled: 1-line block ×3, first 2 shown]
	v_mul_lo_u32 v11, v7, v11
	v_mul_hi_u32 v9, v7, v8
	v_add_co_u32_e32 v12, vcc, v13, v12
	v_addc_co_u32_e32 v13, vcc, 0, v14, vcc
	v_mul_lo_u32 v8, v7, v8
	v_add_co_u32_e32 v11, vcc, v12, v11
	v_addc_co_u32_e32 v10, vcc, v13, v10, vcc
	v_addc_co_u32_e32 v9, vcc, 0, v9, vcc
	v_add_co_u32_e32 v8, vcc, v10, v8
	v_addc_co_u32_e32 v9, vcc, 0, v9, vcc
	v_add_co_u32_e32 v4, vcc, v4, v8
	v_addc_co_u32_e32 v9, vcc, v7, v9, vcc
	v_mad_u64_u32 v[7:8], s[0:1], v5, v9, 0
	v_mul_hi_u32 v10, v5, v4
	v_add_co_u32_e32 v11, vcc, v10, v7
	v_addc_co_u32_e32 v12, vcc, 0, v8, vcc
	v_mad_u64_u32 v[7:8], s[0:1], v6, v4, 0
	v_mad_u64_u32 v[9:10], s[0:1], v6, v9, 0
	v_add_co_u32_e32 v4, vcc, v11, v7
	v_addc_co_u32_e32 v4, vcc, v12, v8, vcc
	v_addc_co_u32_e32 v7, vcc, 0, v10, vcc
	v_add_co_u32_e32 v4, vcc, v4, v9
	v_addc_co_u32_e32 v9, vcc, 0, v7, vcc
	v_mul_lo_u32 v10, s29, v4
	v_mul_lo_u32 v11, s28, v9
	v_mad_u64_u32 v[7:8], s[0:1], s28, v4, 0
	v_add3_u32 v8, v8, v11, v10
	v_sub_u32_e32 v10, v6, v8
	v_mov_b32_e32 v11, s29
	v_sub_co_u32_e32 v7, vcc, v5, v7
	v_subb_co_u32_e64 v10, s[0:1], v10, v11, vcc
	v_subrev_co_u32_e64 v11, s[0:1], s28, v7
	v_subbrev_co_u32_e64 v10, s[0:1], 0, v10, s[0:1]
	v_cmp_le_u32_e64 s[0:1], s29, v10
	v_cndmask_b32_e64 v12, 0, -1, s[0:1]
	v_cmp_le_u32_e64 s[0:1], s28, v11
	v_cndmask_b32_e64 v11, 0, -1, s[0:1]
	v_cmp_eq_u32_e64 s[0:1], s29, v10
	v_cndmask_b32_e64 v10, v12, v11, s[0:1]
	v_add_co_u32_e64 v11, s[0:1], 2, v4
	v_addc_co_u32_e64 v12, s[0:1], 0, v9, s[0:1]
	v_add_co_u32_e64 v13, s[0:1], 1, v4
	v_addc_co_u32_e64 v14, s[0:1], 0, v9, s[0:1]
	v_subb_co_u32_e32 v8, vcc, v6, v8, vcc
	v_cmp_ne_u32_e64 s[0:1], 0, v10
	v_cmp_le_u32_e32 vcc, s29, v8
	v_cndmask_b32_e64 v10, v14, v12, s[0:1]
	v_cndmask_b32_e64 v12, 0, -1, vcc
	v_cmp_le_u32_e32 vcc, s28, v7
	v_cndmask_b32_e64 v7, 0, -1, vcc
	v_cmp_eq_u32_e32 vcc, s29, v8
	v_cndmask_b32_e32 v7, v12, v7, vcc
	v_cmp_ne_u32_e32 vcc, 0, v7
	v_cndmask_b32_e64 v7, v13, v11, s[0:1]
	v_cndmask_b32_e32 v31, v9, v10, vcc
	v_cndmask_b32_e32 v30, v4, v7, vcc
.LBB0_4:                                ;   in Loop: Header=BB0_2 Depth=1
	s_andn2_saveexec_b64 s[0:1], s[30:31]
	s_cbranch_execz .LBB0_6
; %bb.5:                                ;   in Loop: Header=BB0_2 Depth=1
	v_cvt_f32_u32_e32 v4, s28
	s_sub_i32 s30, 0, s28
	v_mov_b32_e32 v31, v3
	v_rcp_iflag_f32_e32 v4, v4
	v_mul_f32_e32 v4, 0x4f7ffffe, v4
	v_cvt_u32_f32_e32 v4, v4
	v_mul_lo_u32 v7, s30, v4
	v_mul_hi_u32 v7, v4, v7
	v_add_u32_e32 v4, v4, v7
	v_mul_hi_u32 v4, v5, v4
	v_mul_lo_u32 v7, v4, s28
	v_add_u32_e32 v8, 1, v4
	v_sub_u32_e32 v7, v5, v7
	v_subrev_u32_e32 v9, s28, v7
	v_cmp_le_u32_e32 vcc, s28, v7
	v_cndmask_b32_e32 v7, v7, v9, vcc
	v_cndmask_b32_e32 v4, v4, v8, vcc
	v_add_u32_e32 v8, 1, v4
	v_cmp_le_u32_e32 vcc, s28, v7
	v_cndmask_b32_e32 v30, v4, v8, vcc
.LBB0_6:                                ;   in Loop: Header=BB0_2 Depth=1
	s_or_b64 exec, exec, s[0:1]
	v_mul_lo_u32 v4, v31, s28
	v_mul_lo_u32 v9, v30, s29
	v_mad_u64_u32 v[7:8], s[0:1], v30, s28, 0
	s_load_dwordx2 s[0:1], s[6:7], 0x0
	s_load_dwordx2 s[28:29], s[2:3], 0x0
	v_add3_u32 v4, v8, v9, v4
	v_sub_co_u32_e32 v5, vcc, v5, v7
	v_subb_co_u32_e32 v4, vcc, v6, v4, vcc
	s_waitcnt lgkmcnt(0)
	v_mul_lo_u32 v6, s0, v4
	v_mul_lo_u32 v7, s1, v5
	v_mad_u64_u32 v[1:2], s[0:1], s0, v5, v[1:2]
	v_mul_lo_u32 v4, s28, v4
	v_mul_lo_u32 v8, s29, v5
	v_mad_u64_u32 v[28:29], s[0:1], s28, v5, v[28:29]
	s_add_u32 s26, s26, 1
	s_addc_u32 s27, s27, 0
	s_add_u32 s2, s2, 8
	v_add3_u32 v29, v8, v29, v4
	s_addc_u32 s3, s3, 0
	v_mov_b32_e32 v4, s14
	s_add_u32 s6, s6, 8
	v_mov_b32_e32 v5, s15
	s_addc_u32 s7, s7, 0
	v_cmp_ge_u64_e32 vcc, s[26:27], v[4:5]
	s_add_u32 s24, s24, 8
	v_add3_u32 v2, v7, v2, v6
	s_addc_u32 s25, s25, 0
	s_cbranch_vccnz .LBB0_9
; %bb.7:                                ;   in Loop: Header=BB0_2 Depth=1
	v_mov_b32_e32 v5, v30
	v_mov_b32_e32 v6, v31
	s_branch .LBB0_2
.LBB0_8:
	v_mov_b32_e32 v29, v2
	v_mov_b32_e32 v31, v6
	;; [unrolled: 1-line block ×4, first 2 shown]
.LBB0_9:
	s_load_dwordx2 s[2:3], s[4:5], 0x28
	s_lshl_b64 s[6:7], s[14:15], 3
	s_add_u32 s4, s18, s6
	v_and_b32_e32 v3, 32, v0
	s_addc_u32 s5, s19, s7
	s_waitcnt lgkmcnt(0)
	v_cmp_gt_u64_e32 vcc, s[2:3], v[30:31]
	v_cmp_le_u64_e64 s[2:3], s[2:3], v[30:31]
	v_cmp_ne_u32_e64 s[0:1], 0, v3
	v_mov_b32_e32 v3, 0x160
	v_and_b32_e32 v36, 31, v0
                                        ; implicit-def: $vgpr22
                                        ; implicit-def: $vgpr23
                                        ; implicit-def: $vgpr27
                                        ; implicit-def: $vgpr32
                                        ; implicit-def: $vgpr33
	s_and_saveexec_b64 s[14:15], s[2:3]
	s_xor_b64 s[2:3], exec, s[14:15]
; %bb.10:
	v_and_b32_e32 v36, 31, v0
	v_or_b32_e32 v22, 32, v36
	v_or_b32_e32 v23, 64, v36
	;; [unrolled: 1-line block ×5, first 2 shown]
                                        ; implicit-def: $vgpr1_vgpr2
; %bb.11:
	s_or_saveexec_b64 s[2:3], s[2:3]
	v_cndmask_b32_e64 v0, 0, v3, s[0:1]
	v_lshlrev_b32_e32 v26, 3, v0
	s_xor_b64 exec, exec, s[2:3]
	s_cbranch_execz .LBB0_13
; %bb.12:
	s_add_u32 s0, s16, s6
	s_addc_u32 s1, s17, s7
	s_load_dwordx2 s[0:1], s[0:1], 0x0
	v_mad_u64_u32 v[3:4], s[6:7], s22, v36, 0
	v_or_b32_e32 v22, 32, v36
	v_lshlrev_b64 v[1:2], 3, v[1:2]
	s_waitcnt lgkmcnt(0)
	v_mul_lo_u32 v9, s1, v30
	v_mul_lo_u32 v10, s0, v31
	v_mad_u64_u32 v[5:6], s[0:1], s0, v30, 0
	v_or_b32_e32 v23, 64, v36
	v_or_b32_e32 v27, 0x60, v36
	v_mad_u64_u32 v[7:8], s[0:1], s23, v36, v[4:5]
	v_add3_u32 v6, v6, v10, v9
	v_lshlrev_b64 v[5:6], 3, v[5:6]
	v_mov_b32_e32 v4, v7
	v_mov_b32_e32 v7, s9
	v_add_co_u32_e64 v8, s[0:1], s8, v5
	v_addc_co_u32_e64 v7, s[0:1], v7, v6, s[0:1]
	v_mad_u64_u32 v[5:6], s[0:1], s22, v22, 0
	v_add_co_u32_e64 v21, s[0:1], v8, v1
	v_addc_co_u32_e64 v41, s[0:1], v7, v2, s[0:1]
	v_lshlrev_b64 v[1:2], 3, v[3:4]
	v_mov_b32_e32 v3, v6
	v_mad_u64_u32 v[3:4], s[0:1], s23, v22, v[3:4]
	v_mad_u64_u32 v[7:8], s[0:1], s22, v23, 0
	v_mov_b32_e32 v6, v3
	v_add_co_u32_e64 v1, s[0:1], v21, v1
	v_lshlrev_b64 v[3:4], 3, v[5:6]
	v_mov_b32_e32 v5, v8
	v_addc_co_u32_e64 v2, s[0:1], v41, v2, s[0:1]
	v_mad_u64_u32 v[5:6], s[0:1], s23, v23, v[5:6]
	v_mad_u64_u32 v[9:10], s[0:1], s22, v27, 0
	v_mov_b32_e32 v8, v5
	v_add_co_u32_e64 v3, s[0:1], v21, v3
	v_lshlrev_b64 v[5:6], 3, v[7:8]
	v_mov_b32_e32 v7, v10
	v_addc_co_u32_e64 v4, s[0:1], v41, v4, s[0:1]
	v_mad_u64_u32 v[7:8], s[0:1], s23, v27, v[7:8]
	v_add_co_u32_e64 v5, s[0:1], v21, v5
	v_mov_b32_e32 v10, v7
	v_lshlrev_b64 v[7:8], 3, v[9:10]
	v_addc_co_u32_e64 v6, s[0:1], v41, v6, s[0:1]
	v_add_co_u32_e64 v7, s[0:1], v21, v7
	v_or_b32_e32 v32, 0x80, v36
	v_or_b32_e32 v33, 0xa0, v36
	v_addc_co_u32_e64 v8, s[0:1], v41, v8, s[0:1]
	v_mad_u64_u32 v[9:10], s[0:1], s22, v32, 0
	v_mad_u64_u32 v[11:12], s[0:1], s22, v33, 0
	v_or_b32_e32 v42, 0x120, v36
	v_or_b32_e32 v0, v0, v36
	v_mad_u64_u32 v[13:14], s[0:1], s23, v32, v[10:11]
	v_mov_b32_e32 v10, v12
	v_mad_u64_u32 v[14:15], s[0:1], s23, v33, v[10:11]
	global_load_dwordx2 v[15:16], v[1:2], off
	global_load_dwordx2 v[17:18], v[3:4], off
	;; [unrolled: 1-line block ×4, first 2 shown]
	v_or_b32_e32 v7, 0xc0, v36
	v_mov_b32_e32 v10, v13
	v_mad_u64_u32 v[5:6], s[0:1], s22, v7, 0
	v_lshlrev_b64 v[1:2], 3, v[9:10]
	v_or_b32_e32 v9, 0xe0, v36
	v_add_co_u32_e64 v1, s[0:1], v21, v1
	v_addc_co_u32_e64 v2, s[0:1], v41, v2, s[0:1]
	v_mad_u64_u32 v[6:7], s[0:1], s23, v7, v[6:7]
	v_mov_b32_e32 v12, v14
	v_mad_u64_u32 v[7:8], s[0:1], s22, v9, 0
	v_lshlrev_b64 v[3:4], 3, v[11:12]
	v_lshlrev_b64 v[5:6], 3, v[5:6]
	v_add_co_u32_e64 v3, s[0:1], v21, v3
	v_addc_co_u32_e64 v4, s[0:1], v41, v4, s[0:1]
	v_mad_u64_u32 v[8:9], s[0:1], s23, v9, v[8:9]
	v_add_co_u32_e64 v5, s[0:1], v21, v5
	v_or_b32_e32 v11, 0x100, v36
	v_addc_co_u32_e64 v6, s[0:1], v41, v6, s[0:1]
	v_mad_u64_u32 v[9:10], s[0:1], s22, v11, 0
	v_lshlrev_b64 v[7:8], 3, v[7:8]
	v_lshl_add_u32 v0, v0, 3, 0
	v_add_co_u32_e64 v7, s[0:1], v21, v7
	v_addc_co_u32_e64 v8, s[0:1], v41, v8, s[0:1]
	v_mad_u64_u32 v[10:11], s[0:1], s23, v11, v[10:11]
	v_mad_u64_u32 v[11:12], s[0:1], s22, v42, 0
	global_load_dwordx2 v[13:14], v[1:2], off
	global_load_dwordx2 v[34:35], v[3:4], off
	;; [unrolled: 1-line block ×4, first 2 shown]
	v_or_b32_e32 v8, 0x140, v36
	v_mov_b32_e32 v3, v12
	v_mad_u64_u32 v[3:4], s[0:1], s23, v42, v[3:4]
	v_mad_u64_u32 v[4:5], s[0:1], s22, v8, 0
	v_lshlrev_b64 v[1:2], 3, v[9:10]
	v_mov_b32_e32 v12, v3
	v_add_co_u32_e64 v1, s[0:1], v21, v1
	v_mov_b32_e32 v3, v5
	v_addc_co_u32_e64 v2, s[0:1], v41, v2, s[0:1]
	v_mad_u64_u32 v[8:9], s[0:1], s23, v8, v[3:4]
	v_lshlrev_b64 v[6:7], 3, v[11:12]
	v_mov_b32_e32 v5, v8
	v_add_co_u32_e64 v6, s[0:1], v21, v6
	v_lshlrev_b64 v[3:4], 3, v[4:5]
	v_addc_co_u32_e64 v7, s[0:1], v41, v7, s[0:1]
	v_add_co_u32_e64 v3, s[0:1], v21, v3
	v_addc_co_u32_e64 v4, s[0:1], v41, v4, s[0:1]
	global_load_dwordx2 v[8:9], v[1:2], off
	global_load_dwordx2 v[10:11], v[6:7], off
	;; [unrolled: 1-line block ×3, first 2 shown]
	v_lshlrev_b32_e32 v1, 3, v36
	s_waitcnt vmcnt(10)
	ds_write_b64 v0, v[15:16]
	v_add3_u32 v0, 0, v26, v1
	s_waitcnt vmcnt(8)
	ds_write2_b64 v0, v[17:18], v[19:20] offset0:32 offset1:64
	s_waitcnt vmcnt(6)
	ds_write2_b64 v0, v[24:25], v[13:14] offset0:96 offset1:128
	;; [unrolled: 2-line block ×3, first 2 shown]
	v_add_u32_e32 v1, 0x400, v0
	v_add_u32_e32 v0, 0x800, v0
	s_waitcnt vmcnt(2)
	ds_write2_b64 v1, v[39:40], v[8:9] offset0:96 offset1:128
	s_waitcnt vmcnt(0)
	ds_write2_b64 v0, v[10:11], v[41:42] offset0:32 offset1:64
.LBB0_13:
	s_or_b64 exec, exec, s[2:3]
	v_add_u32_e32 v37, 0, v26
	v_lshlrev_b32_e32 v0, 3, v36
	v_add_u32_e32 v39, v37, v0
	s_load_dwordx2 s[2:3], s[4:5], 0x0
	s_waitcnt lgkmcnt(0)
	; wave barrier
	s_waitcnt lgkmcnt(0)
	ds_read_b64 v[4:5], v39
	v_add3_u32 v38, 0, v0, v26
	v_add_u32_e32 v12, 0x400, v38
	ds_read2_b64 v[13:16], v38 offset0:32 offset1:64
	ds_read2_b64 v[17:20], v38 offset0:96 offset1:128
	;; [unrolled: 1-line block ×4, first 2 shown]
	s_mov_b32 s4, 0x3f575c64
	s_waitcnt lgkmcnt(3)
	v_add_f32_e32 v6, v4, v13
	v_add_f32_e32 v7, v5, v14
	;; [unrolled: 1-line block ×4, first 2 shown]
	s_waitcnt lgkmcnt(2)
	v_add_f32_e32 v6, v6, v17
	v_add_f32_e32 v7, v7, v18
	s_waitcnt lgkmcnt(0)
	v_add_f32_e32 v9, v42, v17
	v_sub_f32_e32 v10, v17, v42
	v_add_u32_e32 v17, 0x800, v38
	v_add_f32_e32 v6, v6, v19
	v_add_f32_e32 v7, v7, v20
	;; [unrolled: 1-line block ×3, first 2 shown]
	v_sub_f32_e32 v11, v18, v43
	v_add_f32_e32 v34, v40, v19
	v_add_f32_e32 v35, v41, v20
	v_sub_f32_e32 v44, v19, v40
	v_sub_f32_e32 v45, v20, v41
	ds_read2_b64 v[17:20], v17 offset0:32 offset1:64
	v_add_f32_e32 v6, v6, v0
	v_add_f32_e32 v7, v7, v1
	;; [unrolled: 1-line block ×8, first 2 shown]
	s_waitcnt lgkmcnt(0)
	v_add_f32_e32 v24, v20, v14
	v_sub_f32_e32 v14, v14, v20
	v_add_f32_e32 v21, v19, v13
	v_sub_f32_e32 v13, v13, v19
	v_add_f32_e32 v40, v17, v15
	v_add_f32_e32 v41, v18, v16
	v_sub_f32_e32 v42, v15, v17
	v_sub_f32_e32 v43, v16, v18
	v_add_f32_e32 v6, v6, v17
	v_add_f32_e32 v7, v7, v18
	;; [unrolled: 1-line block ×3, first 2 shown]
	v_sub_f32_e32 v47, v0, v2
	v_mul_f32_e32 v0, 0xbf0a6770, v14
	v_mul_f32_e32 v2, 0xbf68dda4, v14
	s_mov_b32 s1, 0x3ed4b147
	s_mov_b32 s0, 0xbe11bafb
	v_mul_f32_e32 v15, 0xbf7d64f0, v14
	s_mov_b32 s5, 0xbf27a4f4
	v_mul_f32_e32 v18, 0xbf4178ce, v14
	v_mul_f32_e32 v14, 0xbe903f40, v14
	s_mov_b32 s6, 0xbf75a155
	v_add_f32_e32 v6, v6, v19
	v_add_f32_e32 v7, v7, v20
	v_add_f32_e32 v46, v3, v1
	v_sub_f32_e32 v48, v1, v3
	v_fma_f32 v1, v21, s4, -v0
	v_fmac_f32_e32 v0, 0x3f575c64, v21
	v_fma_f32 v3, v21, s1, -v2
	v_fmac_f32_e32 v2, 0x3ed4b147, v21
	;; [unrolled: 2-line block ×5, first 2 shown]
	v_mul_f32_e32 v21, 0xbf0a6770, v13
	v_mul_f32_e32 v49, 0xbf68dda4, v13
	;; [unrolled: 1-line block ×5, first 2 shown]
	v_mov_b32_e32 v25, v21
	v_mov_b32_e32 v50, v49
	;; [unrolled: 1-line block ×5, first 2 shown]
	v_fmac_f32_e32 v25, 0x3f575c64, v24
	v_fma_f32 v21, v24, s4, -v21
	v_fmac_f32_e32 v50, 0x3ed4b147, v24
	v_fma_f32 v49, v24, s1, -v49
	;; [unrolled: 2-line block ×5, first 2 shown]
	v_add_f32_e32 v56, v4, v2
	v_mul_f32_e32 v2, 0xbf68dda4, v43
	v_add_f32_e32 v1, v4, v1
	v_add_f32_e32 v24, v5, v25
	;; [unrolled: 1-line block ×12, first 2 shown]
	v_fma_f32 v0, v40, s1, -v2
	v_mul_f32_e32 v5, 0xbf7d64f0, v11
	v_add_f32_e32 v3, v4, v3
	v_add_f32_e32 v16, v4, v16
	;; [unrolled: 1-line block ×8, first 2 shown]
	v_mul_f32_e32 v4, 0xbf68dda4, v42
	v_fma_f32 v13, v9, s0, -v5
	v_mov_b32_e32 v1, v4
	v_add_f32_e32 v0, v13, v0
	v_mul_f32_e32 v13, 0xbf7d64f0, v10
	v_fmac_f32_e32 v1, 0x3ed4b147, v41
	v_mov_b32_e32 v14, v13
	v_add_f32_e32 v1, v1, v24
	v_fmac_f32_e32 v14, 0xbe11bafb, v8
	v_add_f32_e32 v1, v14, v1
	v_mul_f32_e32 v14, 0xbf4178ce, v45
	v_fma_f32 v18, v34, s5, -v14
	v_add_f32_e32 v0, v18, v0
	v_mul_f32_e32 v18, 0xbf4178ce, v44
	v_mov_b32_e32 v19, v18
	v_fmac_f32_e32 v19, 0xbf27a4f4, v35
	v_fmac_f32_e32 v2, 0x3ed4b147, v40
	v_add_f32_e32 v1, v19, v1
	v_mul_f32_e32 v19, 0xbe903f40, v48
	v_add_f32_e32 v2, v2, v25
	v_fma_f32 v4, v41, s1, -v4
	v_fmac_f32_e32 v5, 0xbe11bafb, v9
	v_fma_f32 v20, v17, s6, -v19
	v_add_f32_e32 v4, v4, v21
	v_add_f32_e32 v2, v5, v2
	v_fma_f32 v5, v8, s0, -v13
	v_fmac_f32_e32 v14, 0xbf27a4f4, v34
	v_add_f32_e32 v0, v20, v0
	v_mul_f32_e32 v20, 0xbe903f40, v47
	v_add_f32_e32 v4, v5, v4
	v_add_f32_e32 v2, v14, v2
	v_fma_f32 v5, v35, s5, -v18
	v_fmac_f32_e32 v19, 0xbf75a155, v17
	v_add_f32_e32 v4, v5, v4
	v_add_f32_e32 v18, v19, v2
	v_fma_f32 v2, v46, s6, -v20
	v_add_f32_e32 v19, v2, v4
	v_mul_f32_e32 v4, 0xbf4178ce, v43
	v_fma_f32 v2, v40, s5, -v4
	v_mul_f32_e32 v13, 0x3e903f40, v11
	v_add_f32_e32 v2, v2, v3
	v_mul_f32_e32 v5, 0xbf4178ce, v42
	v_fma_f32 v14, v9, s6, -v13
	v_mov_b32_e32 v3, v5
	v_add_f32_e32 v2, v14, v2
	v_mul_f32_e32 v14, 0x3e903f40, v10
	v_mov_b32_e32 v24, v20
	v_fmac_f32_e32 v3, 0xbf27a4f4, v41
	v_mov_b32_e32 v20, v14
	v_add_f32_e32 v3, v3, v50
	v_fmac_f32_e32 v20, 0xbf75a155, v8
	v_add_f32_e32 v3, v20, v3
	v_mul_f32_e32 v20, 0x3f7d64f0, v45
	v_fma_f32 v21, v34, s0, -v20
	v_fmac_f32_e32 v24, 0xbf75a155, v46
	v_add_f32_e32 v2, v21, v2
	v_mul_f32_e32 v21, 0x3f7d64f0, v44
	v_add_f32_e32 v1, v24, v1
	v_mov_b32_e32 v24, v21
	v_fmac_f32_e32 v24, 0xbe11bafb, v35
	v_fmac_f32_e32 v4, 0xbf27a4f4, v40
	v_add_f32_e32 v3, v24, v3
	v_mul_f32_e32 v24, 0x3f0a6770, v48
	v_add_f32_e32 v4, v4, v56
	v_fma_f32 v5, v41, s5, -v5
	v_fmac_f32_e32 v13, 0xbf75a155, v9
	v_fma_f32 v25, v17, s4, -v24
	v_add_f32_e32 v5, v5, v49
	v_add_f32_e32 v4, v13, v4
	v_fma_f32 v13, v8, s6, -v14
	v_add_f32_e32 v2, v25, v2
	v_mul_f32_e32 v25, 0x3f0a6770, v47
	v_add_f32_e32 v5, v13, v5
	v_fmac_f32_e32 v20, 0xbe11bafb, v34
	v_fma_f32 v13, v35, s0, -v21
	v_add_f32_e32 v4, v20, v4
	v_add_f32_e32 v5, v13, v5
	v_fma_f32 v13, v46, s4, -v25
	v_mul_f32_e32 v20, 0x3e903f40, v43
	v_fmac_f32_e32 v24, 0x3f575c64, v17
	v_add_f32_e32 v5, v13, v5
	v_fma_f32 v13, v40, s6, -v20
	v_mul_f32_e32 v21, 0x3f68dda4, v11
	v_add_f32_e32 v4, v24, v4
	v_add_f32_e32 v13, v13, v16
	v_mul_f32_e32 v16, 0x3e903f40, v42
	v_fma_f32 v24, v9, s1, -v21
	v_mov_b32_e32 v14, v16
	v_add_f32_e32 v13, v24, v13
	v_mul_f32_e32 v24, 0x3f68dda4, v10
	v_mov_b32_e32 v50, v25
	v_fmac_f32_e32 v14, 0xbf75a155, v41
	v_mov_b32_e32 v25, v24
	v_add_f32_e32 v14, v14, v52
	v_fmac_f32_e32 v25, 0x3ed4b147, v8
	v_add_f32_e32 v14, v25, v14
	v_mul_f32_e32 v25, 0xbf0a6770, v45
	v_fma_f32 v49, v34, s4, -v25
	v_fmac_f32_e32 v50, 0x3f575c64, v46
	v_add_f32_e32 v13, v49, v13
	v_mul_f32_e32 v49, 0xbf0a6770, v44
	v_add_f32_e32 v3, v50, v3
	v_mov_b32_e32 v50, v49
	v_fmac_f32_e32 v50, 0x3f575c64, v35
	v_add_f32_e32 v14, v50, v14
	v_mul_f32_e32 v50, 0xbf4178ce, v48
	v_fmac_f32_e32 v20, 0xbf75a155, v40
	v_fma_f32 v16, v41, s6, -v16
	v_fma_f32 v52, v17, s5, -v50
	v_add_f32_e32 v15, v20, v15
	v_add_f32_e32 v16, v16, v51
	v_fma_f32 v20, v8, s1, -v24
	v_add_f32_e32 v13, v52, v13
	v_mul_f32_e32 v52, 0xbf4178ce, v47
	v_fmac_f32_e32 v21, 0x3ed4b147, v9
	v_add_f32_e32 v16, v20, v16
	v_fma_f32 v20, v35, s4, -v49
	v_add_f32_e32 v15, v21, v15
	v_fmac_f32_e32 v25, 0x3f575c64, v34
	v_add_f32_e32 v16, v20, v16
	v_fma_f32 v20, v46, s5, -v52
	v_mul_f32_e32 v24, 0x3f7d64f0, v43
	v_add_f32_e32 v15, v25, v15
	v_fmac_f32_e32 v50, 0xbf27a4f4, v17
	v_add_f32_e32 v16, v20, v16
	v_fma_f32 v20, v40, s0, -v24
	v_mul_f32_e32 v49, 0xbf0a6770, v11
	v_add_f32_e32 v15, v50, v15
	v_add_f32_e32 v20, v20, v57
	v_mul_f32_e32 v25, 0x3f7d64f0, v42
	v_fma_f32 v50, v9, s4, -v49
	v_mov_b32_e32 v21, v25
	v_add_f32_e32 v20, v50, v20
	v_mul_f32_e32 v50, 0xbf0a6770, v10
	v_fmac_f32_e32 v21, 0xbe11bafb, v41
	v_mov_b32_e32 v51, v50
	v_add_f32_e32 v21, v21, v54
	v_fmac_f32_e32 v51, 0x3f575c64, v8
	v_add_f32_e32 v21, v51, v21
	v_mul_f32_e32 v51, 0xbe903f40, v45
	v_mov_b32_e32 v56, v52
	v_fma_f32 v52, v34, s6, -v51
	v_add_f32_e32 v20, v52, v20
	v_mul_f32_e32 v52, 0xbe903f40, v44
	v_mov_b32_e32 v54, v52
	v_fmac_f32_e32 v54, 0xbf75a155, v35
	v_fmac_f32_e32 v24, 0xbe11bafb, v40
	;; [unrolled: 1-line block ×3, first 2 shown]
	v_add_f32_e32 v21, v54, v21
	v_mul_f32_e32 v54, 0x3f68dda4, v48
	v_add_f32_e32 v24, v24, v58
	v_fma_f32 v25, v41, s0, -v25
	v_fmac_f32_e32 v49, 0x3f575c64, v9
	v_add_f32_e32 v14, v56, v14
	v_fma_f32 v56, v17, s1, -v54
	v_add_f32_e32 v25, v25, v53
	v_add_f32_e32 v24, v49, v24
	v_fma_f32 v49, v8, s4, -v50
	v_add_f32_e32 v20, v56, v20
	v_mul_f32_e32 v56, 0x3f68dda4, v47
	v_add_f32_e32 v25, v49, v25
	v_fma_f32 v49, v35, s6, -v52
	v_fmac_f32_e32 v51, 0xbf75a155, v34
	v_add_f32_e32 v25, v49, v25
	v_fma_f32 v49, v46, s1, -v56
	v_mul_f32_e32 v43, 0x3f0a6770, v43
	v_add_f32_e32 v24, v51, v24
	v_add_f32_e32 v25, v49, v25
	v_fma_f32 v49, v40, s4, -v43
	v_mul_f32_e32 v51, 0xbf4178ce, v11
	v_add_f32_e32 v49, v49, v59
	v_mul_f32_e32 v42, 0x3f0a6770, v42
	v_fma_f32 v11, v9, s5, -v51
	v_mov_b32_e32 v50, v42
	v_add_f32_e32 v11, v11, v49
	v_mul_f32_e32 v49, 0xbf4178ce, v10
	v_fmac_f32_e32 v50, 0x3f575c64, v41
	v_mov_b32_e32 v10, v49
	v_add_f32_e32 v50, v50, v55
	v_fmac_f32_e32 v10, 0xbf27a4f4, v8
	v_mul_f32_e32 v45, 0x3f68dda4, v45
	v_add_f32_e32 v10, v10, v50
	v_fma_f32 v50, v34, s1, -v45
	v_mul_f32_e32 v44, 0x3f68dda4, v44
	v_fmac_f32_e32 v43, 0x3f575c64, v40
	v_add_f32_e32 v11, v50, v11
	v_mov_b32_e32 v50, v44
	v_add_f32_e32 v40, v43, v60
	v_fma_f32 v41, v41, s4, -v42
	v_fmac_f32_e32 v51, 0xbf27a4f4, v9
	v_fmac_f32_e32 v50, 0x3ed4b147, v35
	v_mul_f32_e32 v48, 0xbf7d64f0, v48
	v_add_f32_e32 v41, v41, v61
	v_add_f32_e32 v9, v51, v40
	v_fma_f32 v8, v8, s5, -v49
	v_fmac_f32_e32 v45, 0x3ed4b147, v34
	v_add_f32_e32 v50, v50, v10
	v_fma_f32 v10, v17, s0, -v48
	v_mul_f32_e32 v47, 0xbf7d64f0, v47
	v_add_f32_e32 v8, v8, v41
	v_add_f32_e32 v9, v45, v9
	v_fma_f32 v34, v35, s1, -v44
	v_fmac_f32_e32 v48, 0xbe11bafb, v17
	v_mov_b32_e32 v57, v56
	v_add_f32_e32 v10, v10, v11
	v_mov_b32_e32 v11, v47
	v_add_f32_e32 v34, v34, v8
	v_add_f32_e32 v8, v48, v9
	v_fma_f32 v9, v46, s0, -v47
	s_movk_i32 s0, 0x50
	v_fmac_f32_e32 v57, 0x3ed4b147, v46
	v_fmac_f32_e32 v54, 0x3ed4b147, v17
	;; [unrolled: 1-line block ×3, first 2 shown]
	v_mad_u32_u24 v17, v36, s0, v38
	v_add_f32_e32 v21, v57, v21
	v_add_f32_e32 v24, v54, v24
	;; [unrolled: 1-line block ×4, first 2 shown]
	s_waitcnt lgkmcnt(0)
	; wave barrier
	ds_write2_b64 v17, v[6:7], v[0:1] offset1:1
	ds_write2_b64 v17, v[2:3], v[13:14] offset0:2 offset1:3
	ds_write2_b64 v17, v[20:21], v[10:11] offset0:4 offset1:5
	;; [unrolled: 1-line block ×4, first 2 shown]
	ds_write_b64 v17, v[18:19] offset:80
	v_lshl_add_u32 v4, v23, 3, v37
	s_waitcnt lgkmcnt(0)
	; wave barrier
	s_waitcnt lgkmcnt(0)
	ds_read_b64 v[8:9], v39
	ds_read2_b64 v[0:3], v38 offset0:176 offset1:208
	v_lshl_add_u32 v13, v22, 3, v37
	ds_read_b64 v[10:11], v4
	ds_read2_b64 v[4:7], v12 offset0:112 offset1:144
	v_lshl_add_u32 v12, v27, 3, v37
	v_lshl_add_u32 v14, v32, 3, v37
	ds_read_b64 v[16:17], v12
	ds_read_b64 v[24:25], v14
	;; [unrolled: 1-line block ×3, first 2 shown]
	ds_read_b64 v[12:13], v38 offset:2432
	v_cmp_gt_u32_e64 s[0:1], 16, v36
                                        ; implicit-def: $vgpr21
	s_and_saveexec_b64 s[4:5], s[0:1]
	s_cbranch_execz .LBB0_15
; %bb.14:
	v_lshlrev_b32_e32 v18, 3, v33
	v_add3_u32 v18, 0, v18, v26
	ds_read_b64 v[18:19], v18
	ds_read_b64 v[20:21], v38 offset:2688
.LBB0_15:
	s_or_b64 exec, exec, s[4:5]
	s_movk_i32 s4, 0x75
	v_mul_lo_u16_sdwa v34, v36, s4 dst_sel:DWORD dst_unused:UNUSED_PAD src0_sel:BYTE_0 src1_sel:DWORD
	v_sub_u16_sdwa v35, v36, v34 dst_sel:DWORD dst_unused:UNUSED_PAD src0_sel:DWORD src1_sel:BYTE_1
	v_lshrrev_b16_e32 v35, 1, v35
	v_and_b32_e32 v35, 0x7f, v35
	v_add_u16_sdwa v34, v35, v34 dst_sel:DWORD dst_unused:UNUSED_PAD src0_sel:DWORD src1_sel:BYTE_1
	v_lshrrev_b16_e32 v35, 3, v34
	v_mul_lo_u16_e32 v34, 11, v35
	v_sub_u16_e32 v34, v36, v34
	v_mov_b32_e32 v48, 3
	v_lshlrev_b32_sdwa v49, v48, v34 dst_sel:DWORD dst_unused:UNUSED_PAD src0_sel:DWORD src1_sel:BYTE_0
	v_mul_lo_u16_sdwa v34, v22, s4 dst_sel:DWORD dst_unused:UNUSED_PAD src0_sel:BYTE_0 src1_sel:DWORD
	v_sub_u16_sdwa v40, v22, v34 dst_sel:DWORD dst_unused:UNUSED_PAD src0_sel:DWORD src1_sel:BYTE_1
	v_lshrrev_b16_e32 v40, 1, v40
	v_and_b32_e32 v40, 0x7f, v40
	v_add_u16_sdwa v34, v40, v34 dst_sel:DWORD dst_unused:UNUSED_PAD src0_sel:DWORD src1_sel:BYTE_1
	v_lshrrev_b16_e32 v50, 3, v34
	v_mul_lo_u16_e32 v34, 11, v50
	v_sub_u16_e32 v22, v22, v34
	v_lshlrev_b32_sdwa v51, v48, v22 dst_sel:DWORD dst_unused:UNUSED_PAD src0_sel:DWORD src1_sel:BYTE_0
	v_mul_lo_u16_sdwa v22, v23, s4 dst_sel:DWORD dst_unused:UNUSED_PAD src0_sel:BYTE_0 src1_sel:DWORD
	v_sub_u16_sdwa v34, v23, v22 dst_sel:DWORD dst_unused:UNUSED_PAD src0_sel:DWORD src1_sel:BYTE_1
	v_lshrrev_b16_e32 v34, 1, v34
	v_and_b32_e32 v34, 0x7f, v34
	v_add_u16_sdwa v22, v34, v22 dst_sel:DWORD dst_unused:UNUSED_PAD src0_sel:DWORD src1_sel:BYTE_1
	v_lshrrev_b16_e32 v52, 3, v22
	v_mul_lo_u16_e32 v22, 11, v52
	v_sub_u16_e32 v22, v23, v22
	;; [unrolled: 9-line block ×3, first 2 shown]
	v_mul_lo_u16_sdwa v27, v32, s4 dst_sel:DWORD dst_unused:UNUSED_PAD src0_sel:BYTE_0 src1_sel:DWORD
	v_sub_u16_sdwa v34, v32, v27 dst_sel:DWORD dst_unused:UNUSED_PAD src0_sel:DWORD src1_sel:BYTE_1
	v_lshrrev_b16_e32 v34, 1, v34
	v_and_b32_e32 v34, 0x7f, v34
	v_add_u16_sdwa v27, v34, v27 dst_sel:DWORD dst_unused:UNUSED_PAD src0_sel:DWORD src1_sel:BYTE_1
	v_lshrrev_b16_e32 v56, 3, v27
	v_mul_lo_u16_e32 v27, 11, v56
	v_sub_u16_e32 v27, v32, v27
	v_lshlrev_b32_sdwa v57, v48, v27 dst_sel:DWORD dst_unused:UNUSED_PAD src0_sel:DWORD src1_sel:BYTE_0
	v_mul_lo_u16_sdwa v27, v33, s4 dst_sel:DWORD dst_unused:UNUSED_PAD src0_sel:BYTE_0 src1_sel:DWORD
	v_sub_u16_sdwa v32, v33, v27 dst_sel:DWORD dst_unused:UNUSED_PAD src0_sel:DWORD src1_sel:BYTE_1
	v_lshrrev_b16_e32 v32, 1, v32
	v_and_b32_e32 v32, 0x7f, v32
	v_add_u16_sdwa v27, v32, v27 dst_sel:DWORD dst_unused:UNUSED_PAD src0_sel:DWORD src1_sel:BYTE_1
	v_lshrrev_b16_e32 v27, 3, v27
	v_mul_lo_u16_e32 v32, 11, v27
	v_sub_u16_e32 v32, v33, v32
	v_lshlrev_b32_sdwa v34, v48, v32 dst_sel:DWORD dst_unused:UNUSED_PAD src0_sel:DWORD src1_sel:BYTE_0
	v_lshlrev_b32_sdwa v55, v48, v22 dst_sel:DWORD dst_unused:UNUSED_PAD src0_sel:DWORD src1_sel:BYTE_0
	global_load_dwordx2 v[22:23], v49, s[12:13]
	global_load_dwordx2 v[40:41], v51, s[12:13]
	global_load_dwordx2 v[42:43], v53, s[12:13]
	global_load_dwordx2 v[44:45], v55, s[12:13]
	global_load_dwordx2 v[46:47], v57, s[12:13]
	global_load_dwordx2 v[32:33], v34, s[12:13]
	s_movk_i32 s6, 0xb0
	s_waitcnt lgkmcnt(0)
	; wave barrier
	s_waitcnt vmcnt(5) lgkmcnt(0)
	v_mul_f32_e32 v48, v23, v1
	v_mul_f32_e32 v23, v23, v0
	s_waitcnt vmcnt(4)
	v_mul_f32_e32 v58, v41, v3
	v_mul_f32_e32 v41, v41, v2
	s_waitcnt vmcnt(3)
	;; [unrolled: 3-line block ×3, first 2 shown]
	v_mul_f32_e32 v60, v45, v7
	s_waitcnt vmcnt(1)
	v_mul_f32_e32 v61, v47, v13
	v_fma_f32 v0, v22, v0, -v48
	v_fmac_f32_e32 v23, v22, v1
	s_waitcnt vmcnt(0)
	v_mul_f32_e32 v1, v21, v33
	v_mul_f32_e32 v45, v45, v6
	;; [unrolled: 1-line block ×4, first 2 shown]
	v_fmac_f32_e32 v41, v40, v3
	v_fma_f32 v3, v42, v4, -v59
	v_fmac_f32_e32 v43, v42, v5
	v_fma_f32 v4, v44, v6, -v60
	v_fma_f32 v5, v46, v12, -v61
	;; [unrolled: 1-line block ×3, first 2 shown]
	v_sub_f32_e32 v12, v8, v0
	v_fmac_f32_e32 v47, v46, v13
	v_fmac_f32_e32 v48, v21, v32
	v_sub_f32_e32 v13, v9, v23
	v_fma_f32 v32, v8, 2.0, -v12
	v_sub_f32_e32 v8, v16, v4
	v_sub_f32_e32 v4, v18, v6
	v_mad_u32_u24 v6, v35, s6, 0
	v_fma_f32 v2, v40, v2, -v58
	v_fma_f32 v33, v9, 2.0, -v13
	v_add3_u32 v6, v6, v49, v26
	v_sub_f32_e32 v0, v14, v2
	v_sub_f32_e32 v1, v15, v41
	ds_write2_b64 v6, v[32:33], v[12:13] offset1:11
	v_mad_u32_u24 v6, v50, s6, 0
	v_fma_f32 v14, v14, 2.0, -v0
	v_fma_f32 v15, v15, 2.0, -v1
	v_add3_u32 v6, v6, v51, v26
	v_sub_f32_e32 v20, v10, v3
	v_sub_f32_e32 v21, v11, v43
	ds_write2_b64 v6, v[14:15], v[0:1] offset1:11
	v_mad_u32_u24 v6, v52, s6, 0
	v_fmac_f32_e32 v45, v44, v7
	v_fma_f32 v2, v10, 2.0, -v20
	v_fma_f32 v3, v11, 2.0, -v21
	v_add3_u32 v6, v6, v53, v26
	v_sub_f32_e32 v9, v17, v45
	ds_write2_b64 v6, v[2:3], v[20:21] offset1:11
	v_mad_u32_u24 v6, v54, s6, 0
	v_fma_f32 v22, v16, 2.0, -v8
	v_fma_f32 v23, v17, 2.0, -v9
	v_add3_u32 v6, v6, v55, v26
	v_sub_f32_e32 v16, v24, v5
	v_sub_f32_e32 v17, v25, v47
	;; [unrolled: 1-line block ×3, first 2 shown]
	ds_write2_b64 v6, v[22:23], v[8:9] offset1:11
	v_mad_u32_u24 v6, v56, s6, 0
	v_fma_f32 v10, v24, 2.0, -v16
	v_fma_f32 v11, v25, 2.0, -v17
	;; [unrolled: 1-line block ×4, first 2 shown]
	v_add3_u32 v6, v6, v57, v26
	ds_write2_b64 v6, v[10:11], v[16:17] offset1:11
	s_and_saveexec_b64 s[4:5], s[0:1]
	s_cbranch_execz .LBB0_17
; %bb.16:
	v_mad_u32_u24 v6, v27, s6, 0
	v_add3_u32 v6, v6, v34, v26
	ds_write2_b64 v6, v[18:19], v[4:5] offset1:11
.LBB0_17:
	s_or_b64 exec, exec, s[4:5]
	v_cmp_gt_u32_e64 s[0:1], 22, v36
	s_waitcnt lgkmcnt(0)
	; wave barrier
	s_waitcnt lgkmcnt(0)
                                        ; implicit-def: $vgpr25
                                        ; implicit-def: $vgpr35
	s_and_saveexec_b64 s[4:5], s[0:1]
	s_cbranch_execz .LBB0_19
; %bb.18:
	ds_read2_b64 v[12:15], v38 offset0:22 offset1:44
	ds_read2_b64 v[0:3], v38 offset0:66 offset1:88
	;; [unrolled: 1-line block ×5, first 2 shown]
	v_add_u32_e32 v4, 0x400, v38
	v_add_u32_e32 v24, 0x800, v38
	ds_read2_b64 v[4:7], v4 offset0:114 offset1:136
	ds_read2_b64 v[24:27], v24 offset0:30 offset1:52
	ds_read_b64 v[32:33], v39
	ds_read_b64 v[34:35], v38 offset:2640
.LBB0_19:
	s_or_b64 exec, exec, s[4:5]
	s_waitcnt lgkmcnt(0)
	; wave barrier
	s_waitcnt lgkmcnt(0)
	s_and_saveexec_b64 s[4:5], s[0:1]
	s_cbranch_execz .LBB0_21
; %bb.20:
	v_subrev_u32_e32 v40, 22, v36
	v_cndmask_b32_e64 v40, v40, v36, s[0:1]
	v_mul_i32_i24_e32 v40, 15, v40
	v_mov_b32_e32 v41, 0
	v_lshlrev_b64 v[40:41], 3, v[40:41]
	v_mov_b32_e32 v42, s13
	v_add_co_u32_e64 v56, s[0:1], s12, v40
	v_addc_co_u32_e64 v57, s[0:1], v42, v41, s[0:1]
	global_load_dwordx4 v[40:43], v[56:57], off offset:120
	global_load_dwordx4 v[44:47], v[56:57], off offset:88
	;; [unrolled: 1-line block ×4, first 2 shown]
	s_waitcnt vmcnt(3)
	v_mul_f32_e32 v58, v22, v43
	v_mul_f32_e32 v43, v23, v43
	;; [unrolled: 1-line block ×4, first 2 shown]
	s_waitcnt vmcnt(1)
	v_mul_f32_e32 v61, v26, v51
	v_mul_f32_e32 v51, v27, v51
	;; [unrolled: 1-line block ×4, first 2 shown]
	v_fmac_f32_e32 v58, v23, v42
	v_fma_f32 v42, v22, v42, -v43
	v_fmac_f32_e32 v59, v21, v40
	v_fma_f32 v43, v20, v40, -v41
	global_load_dwordx4 v[20:23], v[56:57], off offset:104
	global_load_dwordx2 v[40:41], v[56:57], off offset:200
	v_mul_f32_e32 v60, v15, v47
	v_fmac_f32_e32 v61, v27, v50
	v_fma_f32 v50, v26, v50, -v51
	v_fmac_f32_e32 v62, v25, v48
	v_fma_f32 v48, v24, v48, -v49
	v_mul_f32_e32 v47, v14, v47
	v_mul_f32_e32 v49, v13, v45
	;; [unrolled: 1-line block ×3, first 2 shown]
	global_load_dwordx4 v[24:27], v[56:57], off offset:152
	v_fma_f32 v51, v14, v46, -v60
	v_fmac_f32_e32 v47, v15, v46
	v_fma_f32 v46, v12, v44, -v49
	v_fmac_f32_e32 v45, v13, v44
	global_load_dwordx4 v[12:15], v[56:57], off offset:168
	s_waitcnt vmcnt(4)
	v_mul_f32_e32 v57, v10, v55
	v_fmac_f32_e32 v57, v11, v54
	s_waitcnt vmcnt(3)
	v_mul_f32_e32 v49, v3, v23
	v_fma_f32 v49, v2, v22, -v49
	s_waitcnt vmcnt(1)
	v_mul_f32_e32 v44, v19, v27
	v_mul_f32_e32 v27, v18, v27
	;; [unrolled: 1-line block ×4, first 2 shown]
	v_fmac_f32_e32 v27, v19, v26
	v_fmac_f32_e32 v25, v17, v24
	v_mul_f32_e32 v17, v1, v21
	s_waitcnt vmcnt(0)
	v_mul_f32_e32 v19, v5, v13
	v_fma_f32 v18, v18, v26, -v44
	v_fma_f32 v16, v16, v24, -v60
	v_mul_f32_e32 v24, v8, v53
	v_mul_f32_e32 v26, v34, v41
	;; [unrolled: 1-line block ×5, first 2 shown]
	v_fma_f32 v11, v0, v20, -v17
	v_fma_f32 v0, v4, v12, -v19
	v_mul_f32_e32 v41, v35, v41
	v_fmac_f32_e32 v26, v35, v40
	v_sub_f32_e32 v35, v11, v0
	v_mul_f32_e32 v0, v4, v13
	v_fmac_f32_e32 v24, v9, v52
	v_fmac_f32_e32 v21, v1, v20
	v_sub_f32_e32 v16, v46, v16
	v_fmac_f32_e32 v0, v5, v12
	v_sub_f32_e32 v4, v43, v48
	v_sub_f32_e32 v25, v45, v25
	v_mul_f32_e32 v56, v7, v15
	v_fma_f32 v8, v8, v52, -v44
	v_fma_f32 v9, v34, v40, -v41
	v_sub_f32_e32 v26, v24, v26
	v_sub_f32_e32 v12, v21, v0
	v_add_f32_e32 v48, v25, v4
	v_fma_f32 v46, v46, 2.0, -v16
	v_fma_f32 v4, v43, 2.0, -v4
	v_fma_f32 v55, v6, v14, -v56
	v_sub_f32_e32 v17, v51, v18
	v_sub_f32_e32 v9, v8, v9
	v_mul_f32_e32 v5, v2, v23
	v_mul_f32_e32 v0, v6, v15
	v_sub_f32_e32 v43, v46, v4
	v_fma_f32 v21, v21, 2.0, -v12
	v_fma_f32 v4, v24, 2.0, -v26
	v_fma_f32 v10, v10, v54, -v53
	v_sub_f32_e32 v20, v47, v27
	v_sub_f32_e32 v27, v49, v55
	;; [unrolled: 1-line block ×4, first 2 shown]
	v_fmac_f32_e32 v5, v3, v22
	v_fmac_f32_e32 v0, v7, v14
	v_fma_f32 v14, v51, 2.0, -v17
	v_sub_f32_e32 v24, v21, v4
	v_fma_f32 v51, v11, 2.0, -v35
	v_fma_f32 v4, v8, 2.0, -v9
	v_sub_f32_e32 v19, v42, v50
	v_add_f32_e32 v50, v34, v27
	v_sub_f32_e32 v10, v32, v10
	v_sub_f32_e32 v6, v5, v0
	;; [unrolled: 1-line block ×3, first 2 shown]
	v_fma_f32 v45, v45, 2.0, -v25
	v_fma_f32 v4, v59, 2.0, -v40
	v_sub_f32_e32 v18, v58, v61
	v_add_f32_e32 v44, v20, v19
	v_sub_f32_e32 v53, v16, v40
	v_mov_b32_e32 v54, v50
	v_sub_f32_e32 v22, v10, v6
	v_sub_f32_e32 v40, v45, v4
	v_fma_f32 v32, v32, 2.0, -v10
	v_fma_f32 v4, v49, 2.0, -v27
	v_sub_f32_e32 v41, v17, v18
	v_fmac_f32_e32 v54, 0x3f3504f3, v44
	v_add_f32_e32 v13, v12, v9
	v_mov_b32_e32 v56, v48
	v_mov_b32_e32 v23, v22
	v_fma_f32 v15, v33, 2.0, -v34
	v_fma_f32 v5, v5, 2.0, -v6
	v_sub_f32_e32 v27, v32, v4
	v_fma_f32 v47, v47, 2.0, -v20
	v_fma_f32 v4, v58, 2.0, -v18
	v_fma_f32 v58, v10, 2.0, -v22
	v_sub_f32_e32 v52, v35, v26
	v_mov_b32_e32 v55, v53
	v_fmac_f32_e32 v54, 0x3f3504f3, v41
	v_fmac_f32_e32 v56, 0x3f3504f3, v13
	;; [unrolled: 1-line block ×3, first 2 shown]
	v_sub_f32_e32 v33, v15, v5
	v_sub_f32_e32 v18, v47, v4
	v_fma_f32 v8, v17, 2.0, -v41
	v_fma_f32 v34, v34, 2.0, -v50
	v_mov_b32_e32 v60, v58
	v_fmac_f32_e32 v55, 0x3f3504f3, v52
	v_fmac_f32_e32 v56, 0x3f3504f3, v52
	;; [unrolled: 1-line block ×3, first 2 shown]
	v_fma_f32 v7, v42, 2.0, -v19
	v_fma_f32 v17, v20, 2.0, -v44
	v_mov_b32_e32 v41, v34
	v_fma_f32 v44, v16, 2.0, -v53
	v_fma_f32 v11, v12, 2.0, -v13
	v_fmac_f32_e32 v60, 0xbf3504f3, v8
	v_fma_f32 v61, v15, 2.0, -v33
	v_fma_f32 v12, v47, 2.0, -v18
	;; [unrolled: 1-line block ×3, first 2 shown]
	v_fmac_f32_e32 v55, 0xbf3504f3, v13
	v_sub_f32_e32 v19, v14, v7
	v_fmac_f32_e32 v41, 0xbf3504f3, v17
	v_fmac_f32_e32 v60, 0xbf3504f3, v17
	v_sub_f32_e32 v47, v61, v12
	v_fma_f32 v46, v46, 2.0, -v43
	v_fma_f32 v12, v51, 2.0, -v57
	;; [unrolled: 1-line block ×3, first 2 shown]
	v_mov_b32_e32 v17, v16
	v_sub_f32_e32 v49, v27, v18
	v_sub_f32_e32 v51, v46, v12
	v_fma_f32 v32, v32, 2.0, -v27
	v_fma_f32 v12, v14, 2.0, -v19
	;; [unrolled: 1-line block ×3, first 2 shown]
	v_fmac_f32_e32 v17, 0xbec3ef15, v20
	v_add_f32_e32 v59, v40, v57
	v_sub_f32_e32 v57, v32, v12
	v_fma_f32 v12, v21, 2.0, -v24
	v_fmac_f32_e32 v17, 0x3f6c835e, v18
	v_fma_f32 v21, v22, 2.0, -v23
	v_add_f32_e32 v42, v33, v19
	v_fma_f32 v19, v16, 2.0, -v17
	v_mov_b32_e32 v16, v21
	v_fmac_f32_e32 v16, 0xbec3ef15, v18
	v_fmac_f32_e32 v16, 0xbf6c835e, v20
	v_fma_f32 v20, v33, 2.0, -v42
	v_mov_b32_e32 v0, v23
	v_sub_f32_e32 v26, v43, v24
	v_mov_b32_e32 v5, v42
	v_fma_f32 v18, v21, 2.0, -v16
	v_fma_f32 v24, v40, 2.0, -v59
	v_mov_b32_e32 v21, v20
	v_fmac_f32_e32 v0, 0x3f6c835e, v55
	v_fmac_f32_e32 v5, 0x3f3504f3, v59
	v_mov_b32_e32 v4, v49
	v_fma_f32 v22, v43, 2.0, -v26
	v_fmac_f32_e32 v21, 0xbf3504f3, v24
	v_fmac_f32_e32 v0, 0xbec3ef15, v56
	;; [unrolled: 1-line block ×4, first 2 shown]
	v_fma_f32 v25, v25, 2.0, -v48
	v_fmac_f32_e32 v21, 0x3f3504f3, v22
	v_fma_f32 v26, v27, 2.0, -v49
	v_fma_f32 v2, v23, 2.0, -v0
	;; [unrolled: 1-line block ×3, first 2 shown]
	v_mov_b32_e32 v52, v25
	v_fma_f32 v23, v20, 2.0, -v21
	v_mov_b32_e32 v20, v26
	v_fmac_f32_e32 v41, 0x3f3504f3, v8
	v_mov_b32_e32 v35, v44
	v_fmac_f32_e32 v52, 0xbf3504f3, v11
	v_fmac_f32_e32 v20, 0xbf3504f3, v22
	;; [unrolled: 1-line block ×5, first 2 shown]
	v_fma_f32 v24, v34, 2.0, -v41
	v_fmac_f32_e32 v35, 0xbf3504f3, v11
	v_fma_f32 v33, v25, 2.0, -v52
	v_mov_b32_e32 v25, v24
	v_fma_f32 v22, v26, 2.0, -v20
	v_fma_f32 v26, v44, 2.0, -v35
	v_fmac_f32_e32 v25, 0xbf6c835e, v33
	v_fmac_f32_e32 v25, 0x3ec3ef15, v26
	v_fma_f32 v34, v58, 2.0, -v60
	v_fma_f32 v27, v24, 2.0, -v25
	v_mov_b32_e32 v24, v34
	v_fma_f32 v45, v45, 2.0, -v40
	v_fmac_f32_e32 v24, 0xbf6c835e, v26
	v_sub_f32_e32 v62, v45, v12
	v_fmac_f32_e32 v24, 0xbec3ef15, v33
	v_mov_b32_e32 v9, v41
	v_fma_f32 v26, v34, 2.0, -v24
	v_fma_f32 v34, v61, 2.0, -v47
	;; [unrolled: 1-line block ×3, first 2 shown]
	v_fmac_f32_e32 v9, 0x3ec3ef15, v52
	v_mov_b32_e32 v8, v60
	v_sub_f32_e32 v33, v34, v33
	v_mov_b32_e32 v1, v54
	v_fmac_f32_e32 v9, 0x3f6c835e, v35
	v_fmac_f32_e32 v8, 0x3ec3ef15, v35
	v_fma_f32 v35, v34, 2.0, -v33
	v_fma_f32 v34, v32, 2.0, -v57
	;; [unrolled: 1-line block ×3, first 2 shown]
	v_fmac_f32_e32 v1, 0x3f6c835e, v56
	v_sub_f32_e32 v32, v34, v32
	v_fmac_f32_e32 v1, 0x3ec3ef15, v55
	v_fmac_f32_e32 v4, 0xbf3504f3, v59
	;; [unrolled: 1-line block ×3, first 2 shown]
	v_add_f32_e32 v13, v47, v51
	v_sub_f32_e32 v12, v57, v62
	v_fma_f32 v34, v34, 2.0, -v32
	v_fma_f32 v3, v54, 2.0, -v1
	;; [unrolled: 1-line block ×8, first 2 shown]
	ds_write_b64 v39, v[34:35]
	ds_write2_b64 v38, v[26:27], v[22:23] offset0:22 offset1:44
	ds_write2_b64 v38, v[18:19], v[14:15] offset0:66 offset1:88
	;; [unrolled: 1-line block ×5, first 2 shown]
	v_add_u32_e32 v2, 0x400, v38
	ds_write2_b64 v2, v[16:17], v[12:13] offset0:114 offset1:136
	v_add_u32_e32 v2, 0x800, v38
	ds_write2_b64 v2, v[8:9], v[4:5] offset0:30 offset1:52
	ds_write_b64 v38, v[0:1] offset:2640
.LBB0_21:
	s_or_b64 exec, exec, s[4:5]
	s_waitcnt lgkmcnt(0)
	; wave barrier
	s_waitcnt lgkmcnt(0)
	s_and_saveexec_b64 s[0:1], vcc
	s_cbranch_execz .LBB0_23
; %bb.22:
	v_mul_lo_u32 v2, s3, v30
	v_mul_lo_u32 v3, s2, v31
	v_mad_u64_u32 v[6:7], s[0:1], s2, v30, 0
	v_mad_u64_u32 v[4:5], s[0:1], s20, v36, 0
	v_add3_u32 v7, v7, v3, v2
	v_lshlrev_b64 v[6:7], 3, v[6:7]
	v_mov_b32_e32 v8, s11
	v_add_co_u32_e32 v9, vcc, s10, v6
	v_addc_co_u32_e32 v8, vcc, v8, v7, vcc
	v_lshlrev_b64 v[6:7], 3, v[28:29]
	v_mov_b32_e32 v0, v5
	v_add_co_u32_e32 v11, vcc, v9, v6
	v_addc_co_u32_e32 v12, vcc, v8, v7, vcc
	v_add_u32_e32 v8, 32, v36
	v_mad_u64_u32 v[0:1], s[0:1], s21, v36, v[0:1]
	v_mad_u64_u32 v[6:7], s[0:1], s20, v8, 0
	v_lshl_add_u32 v10, v36, 3, v37
	v_mov_b32_e32 v5, v0
	ds_read2_b64 v[0:3], v10 offset1:32
	v_mad_u64_u32 v[7:8], s[0:1], s21, v8, v[7:8]
	v_add_u32_e32 v13, 64, v36
	v_lshlrev_b64 v[4:5], 3, v[4:5]
	v_mad_u64_u32 v[8:9], s[0:1], s20, v13, 0
	v_add_co_u32_e32 v4, vcc, v11, v4
	v_addc_co_u32_e32 v5, vcc, v12, v5, vcc
	s_waitcnt lgkmcnt(0)
	global_store_dwordx2 v[4:5], v[0:1], off
	v_mov_b32_e32 v4, v9
	v_mad_u64_u32 v[4:5], s[0:1], s21, v13, v[4:5]
	v_lshlrev_b64 v[0:1], 3, v[6:7]
	v_add_u32_e32 v13, 0x80, v36
	v_mov_b32_e32 v9, v4
	v_lshlrev_b64 v[4:5], 3, v[8:9]
	v_add_u32_e32 v8, 0x60, v36
	v_mad_u64_u32 v[6:7], s[0:1], s20, v8, 0
	v_add_co_u32_e32 v0, vcc, v11, v0
	v_addc_co_u32_e32 v1, vcc, v12, v1, vcc
	global_store_dwordx2 v[0:1], v[2:3], off
	ds_read2_b64 v[0:3], v10 offset0:64 offset1:96
	v_mad_u64_u32 v[7:8], s[0:1], s21, v8, v[7:8]
	v_mad_u64_u32 v[8:9], s[0:1], s20, v13, 0
	v_add_co_u32_e32 v4, vcc, v11, v4
	v_addc_co_u32_e32 v5, vcc, v12, v5, vcc
	s_waitcnt lgkmcnt(0)
	global_store_dwordx2 v[4:5], v[0:1], off
	v_mov_b32_e32 v4, v9
	v_mad_u64_u32 v[4:5], s[0:1], s21, v13, v[4:5]
	v_lshlrev_b64 v[0:1], 3, v[6:7]
	v_add_u32_e32 v13, 0xc0, v36
	v_mov_b32_e32 v9, v4
	v_lshlrev_b64 v[4:5], 3, v[8:9]
	v_add_u32_e32 v8, 0xa0, v36
	v_mad_u64_u32 v[6:7], s[0:1], s20, v8, 0
	v_add_co_u32_e32 v0, vcc, v11, v0
	v_addc_co_u32_e32 v1, vcc, v12, v1, vcc
	global_store_dwordx2 v[0:1], v[2:3], off
	ds_read2_b64 v[0:3], v10 offset0:128 offset1:160
	v_mad_u64_u32 v[7:8], s[0:1], s21, v8, v[7:8]
	;; [unrolled: 18-line block ×3, first 2 shown]
	v_mad_u64_u32 v[8:9], s[0:1], s20, v13, 0
	v_add_co_u32_e32 v4, vcc, v11, v4
	v_addc_co_u32_e32 v5, vcc, v12, v5, vcc
	s_waitcnt lgkmcnt(0)
	global_store_dwordx2 v[4:5], v[0:1], off
	v_mov_b32_e32 v4, v9
	v_mad_u64_u32 v[4:5], s[0:1], s21, v13, v[4:5]
	v_lshlrev_b64 v[0:1], 3, v[6:7]
	v_add_u32_e32 v13, 0x140, v36
	v_mov_b32_e32 v9, v4
	v_lshlrev_b64 v[4:5], 3, v[8:9]
	v_add_u32_e32 v8, 0x120, v36
	v_mad_u64_u32 v[6:7], s[0:1], s20, v8, 0
	v_add_co_u32_e32 v0, vcc, v11, v0
	v_addc_co_u32_e32 v1, vcc, v12, v1, vcc
	global_store_dwordx2 v[0:1], v[2:3], off
	v_add_u32_e32 v0, 0x800, v10
	ds_read2_b64 v[0:3], v0 offset1:32
	v_mad_u64_u32 v[7:8], s[0:1], s21, v8, v[7:8]
	v_mad_u64_u32 v[8:9], s[0:1], s20, v13, 0
	v_add_co_u32_e32 v4, vcc, v11, v4
	v_addc_co_u32_e32 v5, vcc, v12, v5, vcc
	s_waitcnt lgkmcnt(0)
	global_store_dwordx2 v[4:5], v[0:1], off
	v_mov_b32_e32 v4, v9
	v_lshlrev_b64 v[0:1], 3, v[6:7]
	v_mad_u64_u32 v[4:5], s[0:1], s21, v13, v[4:5]
	v_add_co_u32_e32 v0, vcc, v11, v0
	v_addc_co_u32_e32 v1, vcc, v12, v1, vcc
	global_store_dwordx2 v[0:1], v[2:3], off
	v_mov_b32_e32 v9, v4
	ds_read_b64 v[0:1], v10 offset:2560
	v_lshlrev_b64 v[2:3], 3, v[8:9]
	v_add_co_u32_e32 v2, vcc, v11, v2
	v_addc_co_u32_e32 v3, vcc, v12, v3, vcc
	s_waitcnt lgkmcnt(0)
	global_store_dwordx2 v[2:3], v[0:1], off
.LBB0_23:
	s_endpgm
	.section	.rodata,"a",@progbits
	.p2align	6, 0x0
	.amdhsa_kernel fft_rtc_fwd_len352_factors_11_2_16_wgs_64_tpt_32_sp_op_CI_CI_sbrr_dirReg
		.amdhsa_group_segment_fixed_size 0
		.amdhsa_private_segment_fixed_size 0
		.amdhsa_kernarg_size 104
		.amdhsa_user_sgpr_count 6
		.amdhsa_user_sgpr_private_segment_buffer 1
		.amdhsa_user_sgpr_dispatch_ptr 0
		.amdhsa_user_sgpr_queue_ptr 0
		.amdhsa_user_sgpr_kernarg_segment_ptr 1
		.amdhsa_user_sgpr_dispatch_id 0
		.amdhsa_user_sgpr_flat_scratch_init 0
		.amdhsa_user_sgpr_private_segment_size 0
		.amdhsa_uses_dynamic_stack 0
		.amdhsa_system_sgpr_private_segment_wavefront_offset 0
		.amdhsa_system_sgpr_workgroup_id_x 1
		.amdhsa_system_sgpr_workgroup_id_y 0
		.amdhsa_system_sgpr_workgroup_id_z 0
		.amdhsa_system_sgpr_workgroup_info 0
		.amdhsa_system_vgpr_workitem_id 0
		.amdhsa_next_free_vgpr 63
		.amdhsa_next_free_sgpr 32
		.amdhsa_reserve_vcc 1
		.amdhsa_reserve_flat_scratch 0
		.amdhsa_float_round_mode_32 0
		.amdhsa_float_round_mode_16_64 0
		.amdhsa_float_denorm_mode_32 3
		.amdhsa_float_denorm_mode_16_64 3
		.amdhsa_dx10_clamp 1
		.amdhsa_ieee_mode 1
		.amdhsa_fp16_overflow 0
		.amdhsa_exception_fp_ieee_invalid_op 0
		.amdhsa_exception_fp_denorm_src 0
		.amdhsa_exception_fp_ieee_div_zero 0
		.amdhsa_exception_fp_ieee_overflow 0
		.amdhsa_exception_fp_ieee_underflow 0
		.amdhsa_exception_fp_ieee_inexact 0
		.amdhsa_exception_int_div_zero 0
	.end_amdhsa_kernel
	.text
.Lfunc_end0:
	.size	fft_rtc_fwd_len352_factors_11_2_16_wgs_64_tpt_32_sp_op_CI_CI_sbrr_dirReg, .Lfunc_end0-fft_rtc_fwd_len352_factors_11_2_16_wgs_64_tpt_32_sp_op_CI_CI_sbrr_dirReg
                                        ; -- End function
	.section	.AMDGPU.csdata,"",@progbits
; Kernel info:
; codeLenInByte = 7660
; NumSgprs: 36
; NumVgprs: 63
; ScratchSize: 0
; MemoryBound: 0
; FloatMode: 240
; IeeeMode: 1
; LDSByteSize: 0 bytes/workgroup (compile time only)
; SGPRBlocks: 4
; VGPRBlocks: 15
; NumSGPRsForWavesPerEU: 36
; NumVGPRsForWavesPerEU: 63
; Occupancy: 4
; WaveLimiterHint : 1
; COMPUTE_PGM_RSRC2:SCRATCH_EN: 0
; COMPUTE_PGM_RSRC2:USER_SGPR: 6
; COMPUTE_PGM_RSRC2:TRAP_HANDLER: 0
; COMPUTE_PGM_RSRC2:TGID_X_EN: 1
; COMPUTE_PGM_RSRC2:TGID_Y_EN: 0
; COMPUTE_PGM_RSRC2:TGID_Z_EN: 0
; COMPUTE_PGM_RSRC2:TIDIG_COMP_CNT: 0
	.type	__hip_cuid_1b791682ec140c8b,@object ; @__hip_cuid_1b791682ec140c8b
	.section	.bss,"aw",@nobits
	.globl	__hip_cuid_1b791682ec140c8b
__hip_cuid_1b791682ec140c8b:
	.byte	0                               ; 0x0
	.size	__hip_cuid_1b791682ec140c8b, 1

	.ident	"AMD clang version 19.0.0git (https://github.com/RadeonOpenCompute/llvm-project roc-6.4.0 25133 c7fe45cf4b819c5991fe208aaa96edf142730f1d)"
	.section	".note.GNU-stack","",@progbits
	.addrsig
	.addrsig_sym __hip_cuid_1b791682ec140c8b
	.amdgpu_metadata
---
amdhsa.kernels:
  - .args:
      - .actual_access:  read_only
        .address_space:  global
        .offset:         0
        .size:           8
        .value_kind:     global_buffer
      - .offset:         8
        .size:           8
        .value_kind:     by_value
      - .actual_access:  read_only
        .address_space:  global
        .offset:         16
        .size:           8
        .value_kind:     global_buffer
      - .actual_access:  read_only
        .address_space:  global
        .offset:         24
        .size:           8
        .value_kind:     global_buffer
      - .actual_access:  read_only
        .address_space:  global
        .offset:         32
        .size:           8
        .value_kind:     global_buffer
      - .offset:         40
        .size:           8
        .value_kind:     by_value
      - .actual_access:  read_only
        .address_space:  global
        .offset:         48
        .size:           8
        .value_kind:     global_buffer
      - .actual_access:  read_only
        .address_space:  global
        .offset:         56
        .size:           8
        .value_kind:     global_buffer
      - .offset:         64
        .size:           4
        .value_kind:     by_value
      - .actual_access:  read_only
        .address_space:  global
        .offset:         72
        .size:           8
        .value_kind:     global_buffer
      - .actual_access:  read_only
        .address_space:  global
        .offset:         80
        .size:           8
        .value_kind:     global_buffer
      - .actual_access:  read_only
        .address_space:  global
        .offset:         88
        .size:           8
        .value_kind:     global_buffer
      - .actual_access:  write_only
        .address_space:  global
        .offset:         96
        .size:           8
        .value_kind:     global_buffer
    .group_segment_fixed_size: 0
    .kernarg_segment_align: 8
    .kernarg_segment_size: 104
    .language:       OpenCL C
    .language_version:
      - 2
      - 0
    .max_flat_workgroup_size: 64
    .name:           fft_rtc_fwd_len352_factors_11_2_16_wgs_64_tpt_32_sp_op_CI_CI_sbrr_dirReg
    .private_segment_fixed_size: 0
    .sgpr_count:     36
    .sgpr_spill_count: 0
    .symbol:         fft_rtc_fwd_len352_factors_11_2_16_wgs_64_tpt_32_sp_op_CI_CI_sbrr_dirReg.kd
    .uniform_work_group_size: 1
    .uses_dynamic_stack: false
    .vgpr_count:     63
    .vgpr_spill_count: 0
    .wavefront_size: 64
amdhsa.target:   amdgcn-amd-amdhsa--gfx906
amdhsa.version:
  - 1
  - 2
...

	.end_amdgpu_metadata
